;; amdgpu-corpus repo=ROCm/rocFFT kind=compiled arch=gfx1201 opt=O3
	.text
	.amdgcn_target "amdgcn-amd-amdhsa--gfx1201"
	.amdhsa_code_object_version 6
	.protected	fft_rtc_back_len44_factors_11_4_wgs_64_tpt_4_halfLds_dp_ip_CI_sbrr_dirReg ; -- Begin function fft_rtc_back_len44_factors_11_4_wgs_64_tpt_4_halfLds_dp_ip_CI_sbrr_dirReg
	.globl	fft_rtc_back_len44_factors_11_4_wgs_64_tpt_4_halfLds_dp_ip_CI_sbrr_dirReg
	.p2align	8
	.type	fft_rtc_back_len44_factors_11_4_wgs_64_tpt_4_halfLds_dp_ip_CI_sbrr_dirReg,@function
fft_rtc_back_len44_factors_11_4_wgs_64_tpt_4_halfLds_dp_ip_CI_sbrr_dirReg: ; @fft_rtc_back_len44_factors_11_4_wgs_64_tpt_4_halfLds_dp_ip_CI_sbrr_dirReg
; %bb.0:
	s_clause 0x2
	s_load_b64 s[12:13], s[0:1], 0x18
	s_load_b128 s[4:7], s[0:1], 0x0
	s_load_b64 s[10:11], s[0:1], 0x50
	v_lshrrev_b32_e32 v48, 2, v0
	v_mov_b32_e32 v3, 0
	v_mov_b32_e32 v1, 0
	;; [unrolled: 1-line block ×3, first 2 shown]
	s_delay_alu instid0(VALU_DEP_4) | instskip(NEXT) | instid1(VALU_DEP_4)
	v_lshl_or_b32 v5, ttmp9, 4, v48
	v_mov_b32_e32 v6, v3
	s_wait_kmcnt 0x0
	s_load_b64 s[8:9], s[12:13], 0x0
	v_cmp_lt_u64_e64 s2, s[6:7], 2
	s_delay_alu instid0(VALU_DEP_1)
	s_and_b32 vcc_lo, exec_lo, s2
	s_cbranch_vccnz .LBB0_8
; %bb.1:
	s_load_b64 s[2:3], s[0:1], 0x10
	v_mov_b32_e32 v1, 0
	v_mov_b32_e32 v2, 0
	s_add_nc_u64 s[14:15], s[12:13], 8
	s_mov_b64 s[16:17], 1
	s_wait_kmcnt 0x0
	s_add_nc_u64 s[18:19], s[2:3], 8
	s_mov_b32 s3, 0
.LBB0_2:                                ; =>This Inner Loop Header: Depth=1
	s_load_b64 s[20:21], s[18:19], 0x0
                                        ; implicit-def: $vgpr7_vgpr8
	s_mov_b32 s2, exec_lo
	s_wait_kmcnt 0x0
	v_or_b32_e32 v4, s21, v6
	s_delay_alu instid0(VALU_DEP_1)
	v_cmpx_ne_u64_e32 0, v[3:4]
	s_wait_alu 0xfffe
	s_xor_b32 s22, exec_lo, s2
	s_cbranch_execz .LBB0_4
; %bb.3:                                ;   in Loop: Header=BB0_2 Depth=1
	s_cvt_f32_u32 s2, s20
	s_cvt_f32_u32 s23, s21
	s_sub_nc_u64 s[26:27], 0, s[20:21]
	s_wait_alu 0xfffe
	s_delay_alu instid0(SALU_CYCLE_1) | instskip(SKIP_1) | instid1(SALU_CYCLE_2)
	s_fmamk_f32 s2, s23, 0x4f800000, s2
	s_wait_alu 0xfffe
	v_s_rcp_f32 s2, s2
	s_delay_alu instid0(TRANS32_DEP_1) | instskip(SKIP_1) | instid1(SALU_CYCLE_2)
	s_mul_f32 s2, s2, 0x5f7ffffc
	s_wait_alu 0xfffe
	s_mul_f32 s23, s2, 0x2f800000
	s_wait_alu 0xfffe
	s_delay_alu instid0(SALU_CYCLE_2) | instskip(SKIP_1) | instid1(SALU_CYCLE_2)
	s_trunc_f32 s23, s23
	s_wait_alu 0xfffe
	s_fmamk_f32 s2, s23, 0xcf800000, s2
	s_cvt_u32_f32 s25, s23
	s_wait_alu 0xfffe
	s_delay_alu instid0(SALU_CYCLE_1) | instskip(SKIP_1) | instid1(SALU_CYCLE_2)
	s_cvt_u32_f32 s24, s2
	s_wait_alu 0xfffe
	s_mul_u64 s[28:29], s[26:27], s[24:25]
	s_wait_alu 0xfffe
	s_mul_hi_u32 s31, s24, s29
	s_mul_i32 s30, s24, s29
	s_mul_hi_u32 s2, s24, s28
	s_mul_i32 s33, s25, s28
	s_wait_alu 0xfffe
	s_add_nc_u64 s[30:31], s[2:3], s[30:31]
	s_mul_hi_u32 s23, s25, s28
	s_mul_hi_u32 s34, s25, s29
	s_add_co_u32 s2, s30, s33
	s_wait_alu 0xfffe
	s_add_co_ci_u32 s2, s31, s23
	s_mul_i32 s28, s25, s29
	s_add_co_ci_u32 s29, s34, 0
	s_wait_alu 0xfffe
	s_add_nc_u64 s[28:29], s[2:3], s[28:29]
	s_wait_alu 0xfffe
	v_add_co_u32 v4, s2, s24, s28
	s_delay_alu instid0(VALU_DEP_1) | instskip(SKIP_1) | instid1(VALU_DEP_1)
	s_cmp_lg_u32 s2, 0
	s_add_co_ci_u32 s25, s25, s29
	v_readfirstlane_b32 s24, v4
	s_wait_alu 0xfffe
	s_delay_alu instid0(VALU_DEP_1)
	s_mul_u64 s[26:27], s[26:27], s[24:25]
	s_wait_alu 0xfffe
	s_mul_hi_u32 s29, s24, s27
	s_mul_i32 s28, s24, s27
	s_mul_hi_u32 s2, s24, s26
	s_mul_i32 s30, s25, s26
	s_wait_alu 0xfffe
	s_add_nc_u64 s[28:29], s[2:3], s[28:29]
	s_mul_hi_u32 s23, s25, s26
	s_mul_hi_u32 s24, s25, s27
	s_wait_alu 0xfffe
	s_add_co_u32 s2, s28, s30
	s_add_co_ci_u32 s2, s29, s23
	s_mul_i32 s26, s25, s27
	s_add_co_ci_u32 s27, s24, 0
	s_wait_alu 0xfffe
	s_add_nc_u64 s[26:27], s[2:3], s[26:27]
	s_wait_alu 0xfffe
	v_add_co_u32 v4, s2, v4, s26
	s_delay_alu instid0(VALU_DEP_1) | instskip(SKIP_1) | instid1(VALU_DEP_1)
	s_cmp_lg_u32 s2, 0
	s_add_co_ci_u32 s2, s25, s27
	v_mul_hi_u32 v13, v5, v4
	s_wait_alu 0xfffe
	v_mad_co_u64_u32 v[7:8], null, v5, s2, 0
	v_mad_co_u64_u32 v[9:10], null, v6, v4, 0
	;; [unrolled: 1-line block ×3, first 2 shown]
	s_delay_alu instid0(VALU_DEP_3) | instskip(SKIP_1) | instid1(VALU_DEP_4)
	v_add_co_u32 v4, vcc_lo, v13, v7
	s_wait_alu 0xfffd
	v_add_co_ci_u32_e32 v7, vcc_lo, 0, v8, vcc_lo
	s_delay_alu instid0(VALU_DEP_2) | instskip(SKIP_1) | instid1(VALU_DEP_2)
	v_add_co_u32 v4, vcc_lo, v4, v9
	s_wait_alu 0xfffd
	v_add_co_ci_u32_e32 v4, vcc_lo, v7, v10, vcc_lo
	s_wait_alu 0xfffd
	v_add_co_ci_u32_e32 v7, vcc_lo, 0, v12, vcc_lo
	s_delay_alu instid0(VALU_DEP_2) | instskip(SKIP_1) | instid1(VALU_DEP_2)
	v_add_co_u32 v4, vcc_lo, v4, v11
	s_wait_alu 0xfffd
	v_add_co_ci_u32_e32 v9, vcc_lo, 0, v7, vcc_lo
	s_delay_alu instid0(VALU_DEP_2) | instskip(SKIP_1) | instid1(VALU_DEP_3)
	v_mul_lo_u32 v10, s21, v4
	v_mad_co_u64_u32 v[7:8], null, s20, v4, 0
	v_mul_lo_u32 v11, s20, v9
	s_delay_alu instid0(VALU_DEP_2) | instskip(NEXT) | instid1(VALU_DEP_2)
	v_sub_co_u32 v7, vcc_lo, v5, v7
	v_add3_u32 v8, v8, v11, v10
	s_delay_alu instid0(VALU_DEP_1) | instskip(SKIP_1) | instid1(VALU_DEP_1)
	v_sub_nc_u32_e32 v10, v6, v8
	s_wait_alu 0xfffd
	v_subrev_co_ci_u32_e64 v10, s2, s21, v10, vcc_lo
	v_add_co_u32 v11, s2, v4, 2
	s_wait_alu 0xf1ff
	v_add_co_ci_u32_e64 v12, s2, 0, v9, s2
	v_sub_co_u32 v13, s2, v7, s20
	v_sub_co_ci_u32_e32 v8, vcc_lo, v6, v8, vcc_lo
	s_wait_alu 0xf1ff
	v_subrev_co_ci_u32_e64 v10, s2, 0, v10, s2
	s_delay_alu instid0(VALU_DEP_3) | instskip(NEXT) | instid1(VALU_DEP_3)
	v_cmp_le_u32_e32 vcc_lo, s20, v13
	v_cmp_eq_u32_e64 s2, s21, v8
	s_wait_alu 0xfffd
	v_cndmask_b32_e64 v13, 0, -1, vcc_lo
	v_cmp_le_u32_e32 vcc_lo, s21, v10
	s_wait_alu 0xfffd
	v_cndmask_b32_e64 v14, 0, -1, vcc_lo
	v_cmp_le_u32_e32 vcc_lo, s20, v7
	;; [unrolled: 3-line block ×3, first 2 shown]
	s_wait_alu 0xfffd
	v_cndmask_b32_e64 v15, 0, -1, vcc_lo
	v_cmp_eq_u32_e32 vcc_lo, s21, v10
	s_wait_alu 0xf1ff
	s_delay_alu instid0(VALU_DEP_2)
	v_cndmask_b32_e64 v7, v15, v7, s2
	s_wait_alu 0xfffd
	v_cndmask_b32_e32 v10, v14, v13, vcc_lo
	v_add_co_u32 v13, vcc_lo, v4, 1
	s_wait_alu 0xfffd
	v_add_co_ci_u32_e32 v14, vcc_lo, 0, v9, vcc_lo
	s_delay_alu instid0(VALU_DEP_3) | instskip(SKIP_2) | instid1(VALU_DEP_3)
	v_cmp_ne_u32_e32 vcc_lo, 0, v10
	s_wait_alu 0xfffd
	v_cndmask_b32_e32 v10, v13, v11, vcc_lo
	v_cndmask_b32_e32 v8, v14, v12, vcc_lo
	v_cmp_ne_u32_e32 vcc_lo, 0, v7
	s_wait_alu 0xfffd
	s_delay_alu instid0(VALU_DEP_2)
	v_dual_cndmask_b32 v7, v4, v10 :: v_dual_cndmask_b32 v8, v9, v8
.LBB0_4:                                ;   in Loop: Header=BB0_2 Depth=1
	s_wait_alu 0xfffe
	s_and_not1_saveexec_b32 s2, s22
	s_cbranch_execz .LBB0_6
; %bb.5:                                ;   in Loop: Header=BB0_2 Depth=1
	v_cvt_f32_u32_e32 v4, s20
	s_sub_co_i32 s22, 0, s20
	s_delay_alu instid0(VALU_DEP_1) | instskip(NEXT) | instid1(TRANS32_DEP_1)
	v_rcp_iflag_f32_e32 v4, v4
	v_mul_f32_e32 v4, 0x4f7ffffe, v4
	s_delay_alu instid0(VALU_DEP_1) | instskip(SKIP_1) | instid1(VALU_DEP_1)
	v_cvt_u32_f32_e32 v4, v4
	s_wait_alu 0xfffe
	v_mul_lo_u32 v7, s22, v4
	s_delay_alu instid0(VALU_DEP_1) | instskip(NEXT) | instid1(VALU_DEP_1)
	v_mul_hi_u32 v7, v4, v7
	v_add_nc_u32_e32 v4, v4, v7
	s_delay_alu instid0(VALU_DEP_1) | instskip(NEXT) | instid1(VALU_DEP_1)
	v_mul_hi_u32 v4, v5, v4
	v_mul_lo_u32 v7, v4, s20
	v_add_nc_u32_e32 v8, 1, v4
	s_delay_alu instid0(VALU_DEP_2) | instskip(NEXT) | instid1(VALU_DEP_1)
	v_sub_nc_u32_e32 v7, v5, v7
	v_subrev_nc_u32_e32 v9, s20, v7
	v_cmp_le_u32_e32 vcc_lo, s20, v7
	s_wait_alu 0xfffd
	s_delay_alu instid0(VALU_DEP_2) | instskip(NEXT) | instid1(VALU_DEP_1)
	v_dual_cndmask_b32 v7, v7, v9 :: v_dual_cndmask_b32 v4, v4, v8
	v_cmp_le_u32_e32 vcc_lo, s20, v7
	s_delay_alu instid0(VALU_DEP_2) | instskip(SKIP_1) | instid1(VALU_DEP_1)
	v_add_nc_u32_e32 v8, 1, v4
	s_wait_alu 0xfffd
	v_dual_cndmask_b32 v7, v4, v8 :: v_dual_mov_b32 v8, v3
.LBB0_6:                                ;   in Loop: Header=BB0_2 Depth=1
	s_wait_alu 0xfffe
	s_or_b32 exec_lo, exec_lo, s2
	s_load_b64 s[22:23], s[14:15], 0x0
	s_delay_alu instid0(VALU_DEP_1)
	v_mul_lo_u32 v4, v8, s20
	v_mul_lo_u32 v11, v7, s21
	v_mad_co_u64_u32 v[9:10], null, v7, s20, 0
	s_add_nc_u64 s[16:17], s[16:17], 1
	s_add_nc_u64 s[14:15], s[14:15], 8
	s_wait_alu 0xfffe
	v_cmp_ge_u64_e64 s2, s[16:17], s[6:7]
	s_add_nc_u64 s[18:19], s[18:19], 8
	s_delay_alu instid0(VALU_DEP_2) | instskip(NEXT) | instid1(VALU_DEP_3)
	v_add3_u32 v4, v10, v11, v4
	v_sub_co_u32 v5, vcc_lo, v5, v9
	s_wait_alu 0xfffd
	s_delay_alu instid0(VALU_DEP_2) | instskip(SKIP_3) | instid1(VALU_DEP_2)
	v_sub_co_ci_u32_e32 v4, vcc_lo, v6, v4, vcc_lo
	s_and_b32 vcc_lo, exec_lo, s2
	s_wait_kmcnt 0x0
	v_mul_lo_u32 v6, s23, v5
	v_mul_lo_u32 v4, s22, v4
	v_mad_co_u64_u32 v[1:2], null, s22, v5, v[1:2]
	s_delay_alu instid0(VALU_DEP_1)
	v_add3_u32 v2, v6, v2, v4
	s_wait_alu 0xfffe
	s_cbranch_vccnz .LBB0_9
; %bb.7:                                ;   in Loop: Header=BB0_2 Depth=1
	v_dual_mov_b32 v5, v7 :: v_dual_mov_b32 v6, v8
	s_branch .LBB0_2
.LBB0_8:
	v_dual_mov_b32 v8, v6 :: v_dual_mov_b32 v7, v5
.LBB0_9:
	s_lshl_b64 s[2:3], s[6:7], 3
	v_and_b32_e32 v70, 3, v0
	s_wait_alu 0xfffe
	s_add_nc_u64 s[2:3], s[12:13], s[2:3]
                                        ; implicit-def: $vgpr73
                                        ; implicit-def: $vgpr71
	s_load_b64 s[2:3], s[2:3], 0x0
	s_load_b64 s[0:1], s[0:1], 0x20
	v_or_b32_e32 v72, 4, v70
	s_wait_kmcnt 0x0
	v_mul_lo_u32 v3, s2, v8
	v_mul_lo_u32 v4, s3, v7
	v_mad_co_u64_u32 v[1:2], null, s2, v7, v[1:2]
	v_cmp_gt_u64_e32 vcc_lo, s[0:1], v[7:8]
	v_cmp_le_u64_e64 s0, s[0:1], v[7:8]
	s_delay_alu instid0(VALU_DEP_3) | instskip(NEXT) | instid1(VALU_DEP_2)
	v_add3_u32 v2, v4, v2, v3
	s_and_saveexec_b32 s1, s0
	s_wait_alu 0xfffe
	s_xor_b32 s0, exec_lo, s1
; %bb.10:
	v_or_b32_e32 v73, 4, v70
	v_or_b32_e32 v71, 8, v70
; %bb.11:
	s_wait_alu 0xfffe
	s_or_saveexec_b32 s1, s0
	v_lshlrev_b64_e32 v[60:61], 4, v[1:2]
                                        ; implicit-def: $vgpr26_vgpr27
                                        ; implicit-def: $vgpr30_vgpr31
                                        ; implicit-def: $vgpr18_vgpr19
                                        ; implicit-def: $vgpr34_vgpr35
                                        ; implicit-def: $vgpr10_vgpr11
                                        ; implicit-def: $vgpr6_vgpr7
                                        ; implicit-def: $vgpr14_vgpr15
                                        ; implicit-def: $vgpr38_vgpr39
                                        ; implicit-def: $vgpr46_vgpr47
                                        ; implicit-def: $vgpr22_vgpr23
                                        ; implicit-def: $vgpr2_vgpr3
	s_wait_alu 0xfffe
	s_xor_b32 exec_lo, exec_lo, s1
	s_cbranch_execz .LBB0_13
; %bb.12:
	v_mad_co_u64_u32 v[0:1], null, s8, v70, 0
	v_mad_co_u64_u32 v[2:3], null, s8, v72, 0
	v_or_b32_e32 v71, 8, v70
	v_or_b32_e32 v16, 16, v70
	v_or_b32_e32 v14, 12, v70
	v_add_co_u32 v37, s0, s10, v60
	v_or_b32_e32 v17, 20, v70
	v_mad_co_u64_u32 v[4:5], null, s9, v70, v[1:2]
	v_mad_co_u64_u32 v[5:6], null, s8, v71, 0
	v_mov_b32_e32 v1, v3
	v_mad_co_u64_u32 v[7:8], null, s8, v14, 0
	s_wait_alu 0xf1ff
	v_add_co_ci_u32_e64 v38, s0, s11, v61, s0
	s_delay_alu instid0(VALU_DEP_3)
	v_mad_co_u64_u32 v[9:10], null, s9, v72, v[1:2]
	v_dual_mov_b32 v1, v4 :: v_dual_mov_b32 v4, v6
	v_or_b32_e32 v39, 36, v70
	v_or_b32_e32 v40, 40, v70
	v_mov_b32_e32 v73, v72
	v_mov_b32_e32 v3, v9
	v_mad_co_u64_u32 v[9:10], null, s9, v71, v[4:5]
	v_mad_co_u64_u32 v[10:11], null, s8, v16, 0
	s_delay_alu instid0(VALU_DEP_2) | instskip(SKIP_1) | instid1(VALU_DEP_3)
	v_mov_b32_e32 v6, v9
	v_lshlrev_b64_e32 v[0:1], 4, v[0:1]
	v_mov_b32_e32 v4, v11
	v_lshlrev_b64_e32 v[2:3], 4, v[2:3]
	v_mad_co_u64_u32 v[8:9], null, s9, v14, v[8:9]
	v_mad_co_u64_u32 v[14:15], null, s8, v17, 0
	v_add_co_u32 v0, s0, v37, v0
	s_wait_alu 0xf1ff
	v_add_co_ci_u32_e64 v1, s0, v38, v1, s0
	v_add_co_u32 v12, s0, v37, v2
	v_lshlrev_b64_e32 v[5:6], 4, v[5:6]
	s_wait_alu 0xf1ff
	v_add_co_ci_u32_e64 v13, s0, v38, v3, s0
	s_clause 0x1
	global_load_b128 v[0:3], v[0:1], off
	global_load_b128 v[24:27], v[12:13], off
	v_mad_co_u64_u32 v[11:12], null, s9, v16, v[4:5]
	v_mov_b32_e32 v4, v15
	v_add_co_u32 v5, s0, v37, v5
	v_lshlrev_b64_e32 v[7:8], 4, v[7:8]
	s_wait_alu 0xf1ff
	v_add_co_ci_u32_e64 v6, s0, v38, v6, s0
	s_delay_alu instid0(VALU_DEP_3) | instskip(SKIP_1) | instid1(VALU_DEP_4)
	v_mad_co_u64_u32 v[12:13], null, s9, v17, v[4:5]
	v_or_b32_e32 v13, 24, v70
	v_add_co_u32 v7, s0, v37, v7
	s_wait_alu 0xf1ff
	v_add_co_ci_u32_e64 v8, s0, v38, v8, s0
	s_delay_alu instid0(VALU_DEP_3)
	v_mad_co_u64_u32 v[32:33], null, s8, v13, 0
	v_mov_b32_e32 v15, v12
	v_lshlrev_b64_e32 v[9:10], 4, v[10:11]
	s_clause 0x1
	global_load_b128 v[28:31], v[5:6], off
	global_load_b128 v[20:23], v[7:8], off
	v_or_b32_e32 v16, 28, v70
	v_or_b32_e32 v17, 32, v70
	v_lshlrev_b64_e32 v[7:8], 4, v[14:15]
	v_mov_b32_e32 v6, v33
	v_add_co_u32 v4, s0, v37, v9
	s_wait_alu 0xf1ff
	v_add_co_ci_u32_e64 v5, s0, v38, v10, s0
	s_delay_alu instid0(VALU_DEP_3) | instskip(SKIP_3) | instid1(VALU_DEP_4)
	v_mad_co_u64_u32 v[9:10], null, s9, v13, v[6:7]
	v_mad_co_u64_u32 v[10:11], null, s8, v16, 0
	;; [unrolled: 1-line block ×3, first 2 shown]
	v_add_co_u32 v6, s0, v37, v7
	v_mov_b32_e32 v33, v9
	s_wait_alu 0xf1ff
	v_add_co_ci_u32_e64 v7, s0, v38, v8, s0
	s_delay_alu instid0(VALU_DEP_4) | instskip(SKIP_1) | instid1(VALU_DEP_2)
	v_dual_mov_b32 v8, v11 :: v_dual_mov_b32 v9, v13
	v_mad_co_u64_u32 v[14:15], null, s8, v39, 0
	v_mad_co_u64_u32 v[34:35], null, s9, v16, v[8:9]
	;; [unrolled: 1-line block ×4, first 2 shown]
	s_clause 0x1
	global_load_b128 v[44:47], v[4:5], off
	global_load_b128 v[16:19], v[6:7], off
	v_lshlrev_b64_e32 v[5:6], 4, v[32:33]
	v_dual_mov_b32 v4, v15 :: v_dual_mov_b32 v11, v34
	v_mov_b32_e32 v13, v8
	s_delay_alu instid0(VALU_DEP_2)
	v_mad_co_u64_u32 v[7:8], null, s9, v39, v[4:5]
	v_mov_b32_e32 v4, v36
	v_add_co_u32 v5, s0, v37, v5
	v_lshlrev_b64_e32 v[8:9], 4, v[10:11]
	s_wait_alu 0xf1ff
	v_add_co_ci_u32_e64 v6, s0, v38, v6, s0
	s_delay_alu instid0(VALU_DEP_3)
	v_mad_co_u64_u32 v[10:11], null, s9, v40, v[4:5]
	v_lshlrev_b64_e32 v[11:12], 4, v[12:13]
	v_mov_b32_e32 v15, v7
	v_add_co_u32 v7, s0, v37, v8
	s_wait_alu 0xf1ff
	v_add_co_ci_u32_e64 v8, s0, v38, v9, s0
	v_mov_b32_e32 v36, v10
	v_lshlrev_b64_e32 v[13:14], 4, v[14:15]
	v_add_co_u32 v9, s0, v37, v11
	s_wait_alu 0xf1ff
	v_add_co_ci_u32_e64 v10, s0, v38, v12, s0
	v_lshlrev_b64_e32 v[11:12], 4, v[35:36]
	s_delay_alu instid0(VALU_DEP_4) | instskip(SKIP_2) | instid1(VALU_DEP_3)
	v_add_co_u32 v40, s0, v37, v13
	s_wait_alu 0xf1ff
	v_add_co_ci_u32_e64 v41, s0, v38, v14, s0
	v_add_co_u32 v42, s0, v37, v11
	s_wait_alu 0xf1ff
	v_add_co_ci_u32_e64 v43, s0, v38, v12, s0
	s_clause 0x4
	global_load_b128 v[32:35], v[5:6], off
	global_load_b128 v[36:39], v[7:8], off
	;; [unrolled: 1-line block ×5, first 2 shown]
.LBB0_13:
	s_or_b32 exec_lo, exec_lo, s1
	s_wait_loadcnt 0x9
	v_add_f64_e32 v[40:41], v[24:25], v[0:1]
	s_wait_loadcnt 0x0
	v_add_f64_e64 v[42:43], v[26:27], -v[6:7]
	s_mov_b32 s28, 0xf8bb580b
	s_mov_b32 s36, 0x8eee2c13
	;; [unrolled: 1-line block ×9, first 2 shown]
	v_add_f64_e64 v[49:50], v[30:31], -v[10:11]
	v_add_f64_e32 v[51:52], v[24:25], v[4:5]
	s_mov_b32 s19, 0xbfefac9e
	s_mov_b32 s12, 0x8764f0ba
	;; [unrolled: 1-line block ×11, first 2 shown]
	s_wait_alu 0xfffe
	s_mov_b32 s34, s22
	s_mov_b32 s30, s18
	;; [unrolled: 1-line block ×5, first 2 shown]
	v_add_f64_e64 v[64:65], v[22:23], -v[14:15]
	v_add_f64_e32 v[66:67], v[28:29], v[8:9]
	s_mov_b32 s3, 0xbfc2375f
	s_mov_b32 s27, 0x3fed1bb4
	;; [unrolled: 1-line block ×3, first 2 shown]
	v_add_f64_e64 v[90:91], v[46:47], -v[38:39]
	v_cmp_eq_u32_e64 s0, 3, v70
	v_cmp_ne_u32_e64 s1, 3, v70
	v_add_f64_e32 v[40:41], v[28:29], v[40:41]
	v_mul_f64_e32 v[53:54], s[28:29], v[42:43]
	v_mul_f64_e32 v[55:56], s[36:37], v[42:43]
	;; [unrolled: 1-line block ×9, first 2 shown]
	s_wait_alu 0xfffe
	v_mul_f64_e32 v[49:50], s[24:25], v[49:50]
	v_mul_f64_e32 v[92:93], s[18:19], v[64:65]
	;; [unrolled: 1-line block ×10, first 2 shown]
	v_add_f64_e32 v[40:41], v[20:21], v[40:41]
	v_fma_f64 v[80:81], v[51:52], s[12:13], v[53:54]
	v_fma_f64 v[53:54], v[51:52], s[12:13], -v[53:54]
	v_fma_f64 v[82:83], v[51:52], s[6:7], -v[55:56]
	v_fma_f64 v[84:85], v[51:52], s[14:15], v[57:58]
	v_fma_f64 v[86:87], v[51:52], s[16:17], v[62:63]
	v_fma_f64 v[57:58], v[51:52], s[14:15], -v[57:58]
	v_fma_f64 v[62:63], v[51:52], s[16:17], -v[62:63]
	;; [unrolled: 1-line block ×3, first 2 shown]
	v_fma_f64 v[55:56], v[51:52], s[6:7], v[55:56]
	v_fma_f64 v[42:43], v[51:52], s[2:3], v[42:43]
	v_add_f64_e32 v[51:52], v[12:13], v[20:21]
	v_fma_f64 v[100:101], v[66:67], s[6:7], v[68:69]
	v_fma_f64 v[68:69], v[66:67], s[6:7], -v[68:69]
	v_fma_f64 v[102:103], v[66:67], s[14:15], v[74:75]
	v_fma_f64 v[74:75], v[66:67], s[14:15], -v[74:75]
	;; [unrolled: 2-line block ×5, first 2 shown]
	v_mul_f64_e32 v[90:91], s[26:27], v[90:91]
	v_add_f64_e32 v[40:41], v[44:45], v[40:41]
	v_add_f64_e32 v[66:67], v[80:81], v[0:1]
	;; [unrolled: 1-line block ×12, first 2 shown]
	v_add_f64_e64 v[88:89], v[18:19], -v[34:35]
	v_fma_f64 v[118:119], v[51:52], s[2:3], v[92:93]
	v_fma_f64 v[92:93], v[51:52], s[2:3], -v[92:93]
	v_fma_f64 v[120:121], v[51:52], s[16:17], v[94:95]
	v_fma_f64 v[94:95], v[51:52], s[16:17], -v[94:95]
	;; [unrolled: 2-line block ×5, first 2 shown]
	v_add_f64_e32 v[40:41], v[16:17], v[40:41]
	v_add_f64_e32 v[64:65], v[100:101], v[66:67]
	;; [unrolled: 1-line block ×12, first 2 shown]
	v_mul_f64_e32 v[78:79], s[22:23], v[88:89]
	v_mul_f64_e32 v[80:81], s[24:25], v[88:89]
	;; [unrolled: 1-line block ×5, first 2 shown]
	v_fma_f64 v[88:89], v[42:43], s[14:15], v[110:111]
	v_fma_f64 v[100:101], v[42:43], s[14:15], -v[110:111]
	v_fma_f64 v[104:105], v[42:43], s[2:3], -v[112:113]
	v_fma_f64 v[106:107], v[42:43], s[12:13], v[114:115]
	v_fma_f64 v[108:109], v[42:43], s[12:13], -v[114:115]
	v_fma_f64 v[110:111], v[42:43], s[16:17], v[116:117]
	v_fma_f64 v[114:115], v[42:43], s[6:7], v[90:91]
	;; [unrolled: 1-line block ×3, first 2 shown]
	v_fma_f64 v[112:113], v[42:43], s[16:17], -v[116:117]
	v_fma_f64 v[42:43], v[42:43], s[6:7], -v[90:91]
	v_add_f64_e32 v[40:41], v[32:33], v[40:41]
	v_add_f64_e32 v[64:65], v[118:119], v[64:65]
	;; [unrolled: 1-line block ×11, first 2 shown]
	v_fma_f64 v[62:63], v[76:77], s[16:17], v[78:79]
	v_fma_f64 v[78:79], v[76:77], s[16:17], -v[78:79]
	v_fma_f64 v[90:91], v[76:77], s[12:13], v[80:81]
	v_fma_f64 v[80:81], v[76:77], s[12:13], -v[80:81]
	v_fma_f64 v[94:95], v[76:77], s[6:7], v[84:85]
	v_fma_f64 v[96:97], v[76:77], s[2:3], v[86:87]
	;; [unrolled: 1-line block ×3, first 2 shown]
	v_fma_f64 v[82:83], v[76:77], s[14:15], -v[82:83]
	v_fma_f64 v[84:85], v[76:77], s[6:7], -v[84:85]
	;; [unrolled: 1-line block ×3, first 2 shown]
	v_add_f64_e32 v[40:41], v[36:37], v[40:41]
	v_add_f64_e32 v[64:65], v[88:89], v[64:65]
	;; [unrolled: 1-line block ×14, first 2 shown]
	v_mul_u32_u24_e32 v79, 44, v48
	v_add_f64_e32 v[53:54], v[94:95], v[68:69]
	v_lshlrev_b32_e32 v78, 3, v71
	v_add_f64_e32 v[57:58], v[84:85], v[57:58]
	v_add_f64_e32 v[49:50], v[76:77], v[49:50]
	;; [unrolled: 1-line block ×5, first 2 shown]
	v_lshl_add_u32 v48, v79, 3, 0
	v_lshlrev_b32_e32 v79, 3, v79
	s_delay_alu instid0(VALU_DEP_2)
	v_lshl_add_u32 v76, v70, 3, v48
	v_lshl_add_u32 v77, v73, 3, v48
	v_add_f64_e32 v[86:87], v[8:9], v[40:41]
	v_add_f64_e32 v[40:41], v[80:81], v[66:67]
	;; [unrolled: 1-line block ×3, first 2 shown]
	v_mad_u32_u24 v74, 0x58, v70, v48
	s_delay_alu instid0(VALU_DEP_1)
	v_mad_i32_i24 v75, 0xffffffb0, v70, v74
	v_add_f64_e32 v[55:56], v[4:5], v[86:87]
	ds_store_2addr_b64 v74, v[53:54], v[66:67] offset0:4 offset1:5
	ds_store_2addr_b64 v74, v[49:50], v[57:58] offset0:6 offset1:7
	ds_store_2addr_b64 v74, v[62:63], v[40:41] offset0:8 offset1:9
	ds_store_b64 v74, v[42:43] offset:80
	ds_store_2addr_b64 v74, v[51:52], v[0:1] offset0:2 offset1:3
	ds_store_2addr_b64 v74, v[55:56], v[64:65] offset1:1
	global_wb scope:SCOPE_SE
	s_wait_dscnt 0x0
	s_barrier_signal -1
	s_barrier_wait -1
	global_inv scope:SCOPE_SE
	ds_load_2addr_b64 v[52:55], v75 offset0:11 offset1:15
	ds_load_2addr_b64 v[48:51], v75 offset0:22 offset1:26
	;; [unrolled: 1-line block ×3, first 2 shown]
	ds_load_b64 v[68:69], v76
	ds_load_b64 v[66:67], v77
                                        ; implicit-def: $vgpr64_vgpr65
	s_and_saveexec_b32 s33, s1
	s_cbranch_execz .LBB0_15
; %bb.14:
	v_add3_u32 v0, 0, v78, v79
	ds_load_2addr_b64 v[40:43], v75 offset0:19 offset1:30
	ds_load_b64 v[62:63], v0
	ds_load_b64 v[64:65], v75 offset:328
.LBB0_15:
	s_or_b32 exec_lo, exec_lo, s33
	v_add_f64_e32 v[0:1], v[26:27], v[2:3]
	v_add_f64_e64 v[4:5], v[24:25], -v[4:5]
	v_add_f64_e64 v[8:9], v[28:29], -v[8:9]
	v_add_f64_e32 v[24:25], v[26:27], v[6:7]
	v_add_f64_e64 v[12:13], v[20:21], -v[12:13]
	v_add_f64_e32 v[20:21], v[30:31], v[10:11]
	v_add_f64_e64 v[16:17], v[16:17], -v[32:33]
	global_wb scope:SCOPE_SE
	s_wait_dscnt 0x0
	s_barrier_signal -1
	s_barrier_wait -1
	global_inv scope:SCOPE_SE
	v_add_f64_e32 v[0:1], v[30:31], v[0:1]
	v_mul_f64_e32 v[26:27], s[28:29], v[4:5]
	v_mul_f64_e32 v[28:29], s[36:37], v[4:5]
	;; [unrolled: 1-line block ×12, first 2 shown]
	v_add_f64_e32 v[0:1], v[22:23], v[0:1]
	v_fma_f64 v[90:91], v[24:25], s[12:13], -v[26:27]
	v_fma_f64 v[26:27], v[24:25], s[12:13], v[26:27]
	v_fma_f64 v[92:93], v[24:25], s[6:7], v[28:29]
	v_fma_f64 v[94:95], v[24:25], s[14:15], -v[80:81]
	v_fma_f64 v[80:81], v[24:25], s[14:15], v[80:81]
	v_fma_f64 v[96:97], v[24:25], s[16:17], -v[82:83]
	v_fma_f64 v[82:83], v[24:25], s[16:17], v[82:83]
	v_fma_f64 v[98:99], v[24:25], s[2:3], v[4:5]
	v_fma_f64 v[28:29], v[24:25], s[6:7], -v[28:29]
	v_fma_f64 v[4:5], v[24:25], s[2:3], -v[4:5]
	v_add_f64_e32 v[22:23], v[14:15], v[22:23]
	v_add_f64_e64 v[24:25], v[44:45], -v[36:37]
	v_mul_f64_e32 v[36:37], s[18:19], v[12:13]
	v_mul_f64_e32 v[44:45], s[34:35], v[12:13]
	;; [unrolled: 1-line block ×3, first 2 shown]
	v_fma_f64 v[104:105], v[20:21], s[6:7], -v[30:31]
	v_fma_f64 v[30:31], v[20:21], s[6:7], v[30:31]
	v_fma_f64 v[106:107], v[20:21], s[14:15], -v[84:85]
	v_fma_f64 v[84:85], v[20:21], s[14:15], v[84:85]
	;; [unrolled: 2-line block ×5, first 2 shown]
	v_add_f64_e32 v[0:1], v[46:47], v[0:1]
	v_add_f64_e32 v[20:21], v[90:91], v[2:3]
	;; [unrolled: 1-line block ×12, first 2 shown]
	v_mul_f64_e32 v[32:33], s[20:21], v[24:25]
	v_mul_f64_e32 v[46:47], s[30:31], v[24:25]
	;; [unrolled: 1-line block ×5, first 2 shown]
	v_fma_f64 v[116:117], v[22:23], s[2:3], -v[36:37]
	v_fma_f64 v[36:37], v[22:23], s[2:3], v[36:37]
	v_fma_f64 v[118:119], v[22:23], s[16:17], -v[44:45]
	v_fma_f64 v[44:45], v[22:23], s[16:17], v[44:45]
	;; [unrolled: 2-line block ×5, first 2 shown]
	v_add_f64_e32 v[0:1], v[18:19], v[0:1]
	v_add_f64_e32 v[20:21], v[104:105], v[20:21]
	;; [unrolled: 1-line block ×12, first 2 shown]
	v_mul_f64_e32 v[86:87], s[20:21], v[16:17]
	v_mul_f64_e32 v[88:89], s[26:27], v[16:17]
	v_fma_f64 v[90:91], v[4:5], s[14:15], -v[32:33]
	v_fma_f64 v[32:33], v[4:5], s[14:15], v[32:33]
	v_fma_f64 v[92:93], v[4:5], s[2:3], -v[46:47]
	v_fma_f64 v[46:47], v[4:5], s[2:3], v[46:47]
	;; [unrolled: 2-line block ×5, first 2 shown]
	v_add_f64_e32 v[0:1], v[34:35], v[0:1]
	v_mul_f64_e32 v[34:35], s[22:23], v[16:17]
	v_add_f64_e32 v[20:21], v[116:117], v[20:21]
	v_add_f64_e32 v[22:23], v[36:37], v[22:23]
	;; [unrolled: 1-line block ×10, first 2 shown]
	v_fma_f64 v[80:81], v[18:19], s[14:15], -v[86:87]
	v_fma_f64 v[82:83], v[18:19], s[14:15], v[86:87]
	v_fma_f64 v[84:85], v[18:19], s[6:7], -v[88:89]
	v_fma_f64 v[86:87], v[18:19], s[6:7], v[88:89]
	v_add_f64_e32 v[0:1], v[38:39], v[0:1]
	v_mul_f64_e32 v[38:39], s[24:25], v[16:17]
	v_mul_f64_e32 v[16:17], s[18:19], v[16:17]
	v_add_f64_e32 v[4:5], v[4:5], v[8:9]
	v_add_f64_e32 v[8:9], v[96:97], v[12:13]
	;; [unrolled: 1-line block ×5, first 2 shown]
	v_fma_f64 v[14:15], v[18:19], s[16:17], -v[34:35]
	v_fma_f64 v[34:35], v[18:19], s[16:17], v[34:35]
	v_fma_f64 v[44:45], v[18:19], s[12:13], -v[38:39]
	v_fma_f64 v[38:39], v[18:19], s[12:13], v[38:39]
	;; [unrolled: 2-line block ×3, first 2 shown]
	v_add_f64_e32 v[18:19], v[90:91], v[20:21]
	v_add_f64_e32 v[20:21], v[32:33], v[22:23]
	;; [unrolled: 1-line block ×18, first 2 shown]
	ds_store_2addr_b64 v74, v[18:19], v[22:23] offset0:4 offset1:5
	ds_store_2addr_b64 v74, v[4:5], v[20:21] offset0:6 offset1:7
	;; [unrolled: 1-line block ×3, first 2 shown]
	ds_store_b64 v74, v[2:3] offset:80
	ds_store_2addr_b64 v74, v[6:7], v[14:15] offset1:1
	ds_store_2addr_b64 v74, v[8:9], v[10:11] offset0:2 offset1:3
	global_wb scope:SCOPE_SE
	s_wait_dscnt 0x0
	s_barrier_signal -1
	s_barrier_wait -1
	global_inv scope:SCOPE_SE
	ds_load_2addr_b64 v[4:7], v75 offset0:11 offset1:15
	ds_load_2addr_b64 v[12:15], v75 offset0:22 offset1:26
	;; [unrolled: 1-line block ×3, first 2 shown]
	ds_load_b64 v[24:25], v76
	ds_load_b64 v[22:23], v77
                                        ; implicit-def: $vgpr18_vgpr19
	s_and_saveexec_b32 s2, s1
	s_cbranch_execz .LBB0_17
; %bb.16:
	v_add3_u32 v16, 0, v78, v79
	ds_load_2addr_b64 v[0:3], v75 offset0:19 offset1:30
	ds_load_b64 v[16:17], v16
	ds_load_b64 v[18:19], v75 offset:328
.LBB0_17:
	s_wait_alu 0xfffe
	s_or_b32 exec_lo, exec_lo, s2
	s_and_saveexec_b32 s2, vcc_lo
	s_cbranch_execz .LBB0_20
; %bb.18:
	v_mul_i32_i24_e32 v20, 3, v73
	v_mul_u32_u24_e32 v28, 3, v70
	v_mov_b32_e32 v21, 0
	s_delay_alu instid0(VALU_DEP_1) | instskip(NEXT) | instid1(VALU_DEP_3)
	v_lshlrev_b64_e32 v[26:27], 4, v[20:21]
	v_lshlrev_b32_e32 v20, 4, v28
	s_delay_alu instid0(VALU_DEP_2) | instskip(SKIP_1) | instid1(VALU_DEP_3)
	v_add_co_u32 v38, vcc_lo, s4, v26
	s_wait_alu 0xfffd
	v_add_co_ci_u32_e32 v39, vcc_lo, s5, v27, vcc_lo
	s_clause 0x5
	global_load_b128 v[26:29], v20, s[4:5] offset:16
	global_load_b128 v[30:33], v20, s[4:5] offset:32
	global_load_b128 v[34:37], v[38:39], off offset:16
	global_load_b128 v[44:47], v[38:39], off
	global_load_b128 v[73:76], v[38:39], off offset:32
	global_load_b128 v[77:80], v20, s[4:5]
	s_wait_loadcnt 0x5
	v_mul_f64_e32 v[38:39], v[48:49], v[28:29]
	s_wait_loadcnt 0x4
	v_mul_f64_e32 v[81:82], v[56:57], v[30:31]
	s_wait_dscnt 0x3
	v_mul_f64_e32 v[28:29], v[12:13], v[28:29]
	v_mul_f64_e32 v[56:57], v[56:57], v[32:33]
	s_wait_loadcnt 0x3
	v_mul_f64_e32 v[83:84], v[50:51], v[36:37]
	s_wait_loadcnt 0x2
	v_mul_f64_e32 v[85:86], v[54:55], v[44:45]
	v_mul_f64_e32 v[54:55], v[54:55], v[46:47]
	s_wait_loadcnt 0x1
	v_mul_f64_e32 v[87:88], v[58:59], v[75:76]
	;; [unrolled: 3-line block ×3, first 2 shown]
	v_mul_f64_e32 v[52:53], v[52:53], v[77:78]
	v_mul_f64_e32 v[58:59], v[58:59], v[73:74]
	v_fma_f64 v[12:13], v[12:13], v[26:27], -v[38:39]
	s_wait_dscnt 0x2
	v_fma_f64 v[32:33], v[8:9], v[32:33], v[81:82]
	v_fma_f64 v[26:27], v[48:49], v[26:27], v[28:29]
	v_fma_f64 v[8:9], v[8:9], v[30:31], -v[56:57]
	v_fma_f64 v[14:15], v[14:15], v[34:35], -v[83:84]
	v_fma_f64 v[28:29], v[6:7], v[46:47], v[85:86]
	v_fma_f64 v[6:7], v[6:7], v[44:45], -v[54:55]
	v_fma_f64 v[30:31], v[10:11], v[73:74], -v[87:88]
	v_fma_f64 v[34:35], v[50:51], v[34:35], v[36:37]
	v_fma_f64 v[36:37], v[4:5], v[77:78], -v[89:90]
	v_fma_f64 v[4:5], v[4:5], v[79:80], v[52:53]
	v_fma_f64 v[10:11], v[10:11], v[75:76], v[58:59]
	v_mad_co_u64_u32 v[56:57], null, s8, v72, 0
	v_add_nc_u32_e32 v80, 11, v70
	s_wait_dscnt 0x1
	v_add_f64_e64 v[38:39], v[24:25], -v[12:13]
	s_delay_alu instid0(VALU_DEP_3)
	v_mov_b32_e32 v13, v57
	v_add_f64_e64 v[44:45], v[68:69], -v[26:27]
	v_mad_co_u64_u32 v[58:59], null, s8, v80, 0
	s_wait_dscnt 0x0
	v_add_f64_e64 v[14:15], v[22:23], -v[14:15]
	v_add_nc_u32_e32 v83, 15, v70
	v_add_f64_e64 v[30:31], v[6:7], -v[30:31]
	v_add_f64_e64 v[52:53], v[66:67], -v[34:35]
	;; [unrolled: 1-line block ×4, first 2 shown]
	v_mov_b32_e32 v20, v59
	v_add_f64_e64 v[32:33], v[28:29], -v[10:11]
	v_mad_co_u64_u32 v[34:35], null, s8, v70, 0
	s_delay_alu instid0(VALU_DEP_1) | instskip(NEXT) | instid1(VALU_DEP_1)
	v_dual_mov_b32 v12, v35 :: v_dual_add_nc_u32 v81, 22, v70
	v_mad_co_u64_u32 v[77:78], null, s9, v70, v[12:13]
	v_fma_f64 v[46:47], v[24:25], 2.0, -v[38:39]
	v_fma_f64 v[48:49], v[68:69], 2.0, -v[44:45]
	v_mad_co_u64_u32 v[68:69], null, s8, v83, 0
	v_fma_f64 v[50:51], v[22:23], 2.0, -v[14:15]
	v_mad_co_u64_u32 v[78:79], null, s9, v72, v[13:14]
	v_fma_f64 v[22:23], v[6:7], 2.0, -v[30:31]
	v_fma_f64 v[6:7], v[36:37], 2.0, -v[26:27]
	;; [unrolled: 1-line block ×5, first 2 shown]
	v_add_co_u32 v4, vcc_lo, s10, v60
	s_wait_alu 0xfffd
	v_add_co_ci_u32_e32 v5, vcc_lo, s11, v61, vcc_lo
	v_mad_co_u64_u32 v[60:61], null, s8, v81, 0
	v_add_nc_u32_e32 v82, 33, v70
	v_add_f64_e64 v[8:9], v[38:39], -v[8:9]
	v_add_f64_e64 v[24:25], v[14:15], -v[32:33]
	v_mad_co_u64_u32 v[32:33], null, s9, v80, v[20:21]
	v_mov_b32_e32 v35, v61
	v_mad_co_u64_u32 v[66:67], null, s8, v82, 0
	s_delay_alu instid0(VALU_DEP_1) | instskip(NEXT) | instid1(VALU_DEP_1)
	v_dual_mov_b32 v57, v67 :: v_dual_add_nc_u32 v84, 26, v70
	v_mad_co_u64_u32 v[73:74], null, s8, v84, 0
	v_add_nc_u32_e32 v85, 37, v70
	s_delay_alu instid0(VALU_DEP_3)
	v_mad_co_u64_u32 v[79:80], null, s9, v82, v[57:58]
	v_mov_b32_e32 v57, v78
	v_add_f64_e64 v[28:29], v[50:51], -v[22:23]
	v_add_f64_e64 v[12:13], v[46:47], -v[6:7]
	;; [unrolled: 1-line block ×3, first 2 shown]
	v_add_f64_e32 v[6:7], v[44:45], v[26:27]
	v_add_f64_e64 v[26:27], v[54:55], -v[36:37]
	v_add_f64_e32 v[22:23], v[52:53], v[30:31]
	v_mov_b32_e32 v30, v74
	v_mad_co_u64_u32 v[75:76], null, s8, v85, 0
	v_mad_co_u64_u32 v[36:37], null, s9, v81, v[35:36]
	v_mov_b32_e32 v35, v77
	v_lshlrev_b64_e32 v[56:57], 4, v[56:57]
	v_mov_b32_e32 v67, v79
	v_mov_b32_e32 v31, v76
	;; [unrolled: 1-line block ×3, first 2 shown]
	s_delay_alu instid0(VALU_DEP_3) | instskip(NEXT) | instid1(VALU_DEP_3)
	v_lshlrev_b64_e32 v[66:67], 4, v[66:67]
	v_mad_co_u64_u32 v[76:77], null, s9, v84, v[30:31]
	v_mad_co_u64_u32 v[30:31], null, s9, v85, v[31:32]
	v_mov_b32_e32 v59, v69
	v_lshlrev_b64_e32 v[77:78], 4, v[34:35]
	s_delay_alu instid0(VALU_DEP_4) | instskip(NEXT) | instid1(VALU_DEP_3)
	v_mov_b32_e32 v74, v76
	v_mad_co_u64_u32 v[80:81], null, s9, v83, v[59:60]
	v_dual_mov_b32 v59, v32 :: v_dual_mov_b32 v76, v30
	v_fma_f64 v[32:33], v[38:39], 2.0, -v[8:9]
	v_lshlrev_b64_e32 v[60:61], 4, v[60:61]
	v_lshlrev_b64_e32 v[72:73], 4, v[73:74]
	s_delay_alu instid0(VALU_DEP_4)
	v_lshlrev_b64_e32 v[58:59], 4, v[58:59]
	v_mov_b32_e32 v69, v80
	v_fma_f64 v[50:51], v[50:51], 2.0, -v[28:29]
	v_fma_f64 v[36:37], v[46:47], 2.0, -v[12:13]
	;; [unrolled: 1-line block ×7, first 2 shown]
	v_add_co_u32 v14, vcc_lo, v4, v77
	s_wait_alu 0xfffd
	v_add_co_ci_u32_e32 v15, vcc_lo, v5, v78, vcc_lo
	v_add_co_u32 v38, vcc_lo, v4, v56
	s_wait_alu 0xfffd
	v_add_co_ci_u32_e32 v39, vcc_lo, v5, v57, vcc_lo
	;; [unrolled: 3-line block ×3, first 2 shown]
	v_lshlrev_b64_e32 v[68:69], 4, v[68:69]
	v_add_co_u32 v54, vcc_lo, v4, v60
	s_wait_alu 0xfffd
	v_add_co_ci_u32_e32 v55, vcc_lo, v5, v61, vcc_lo
	v_add_co_u32 v56, vcc_lo, v4, v66
	s_wait_alu 0xfffd
	v_add_co_ci_u32_e32 v57, vcc_lo, v5, v67, vcc_lo
	v_lshlrev_b64_e32 v[74:75], 4, v[75:76]
	v_add_co_u32 v58, vcc_lo, v4, v68
	s_wait_alu 0xfffd
	v_add_co_ci_u32_e32 v59, vcc_lo, v5, v69, vcc_lo
	v_add_co_u32 v60, vcc_lo, v4, v72
	s_wait_alu 0xfffd
	v_add_co_ci_u32_e32 v61, vcc_lo, v5, v73, vcc_lo
	;; [unrolled: 3-line block ×3, first 2 shown]
	s_clause 0x7
	global_store_b128 v[14:15], v[34:37], off
	global_store_b128 v[52:53], v[30:33], off
	;; [unrolled: 1-line block ×8, first 2 shown]
	s_and_b32 exec_lo, exec_lo, s1
	s_cbranch_execz .LBB0_20
; %bb.19:
	v_mul_i32_i24_e32 v6, 3, v71
	v_add_nc_u32_e32 v33, 41, v70
	s_delay_alu instid0(VALU_DEP_2) | instskip(NEXT) | instid1(VALU_DEP_2)
	v_cndmask_b32_e64 v20, v6, 0, s0
	v_mad_co_u64_u32 v[28:29], null, s8, v33, 0
	s_delay_alu instid0(VALU_DEP_2) | instskip(NEXT) | instid1(VALU_DEP_1)
	v_lshlrev_b64_e32 v[6:7], 4, v[20:21]
	v_add_co_u32 v14, vcc_lo, s4, v6
	s_wait_alu 0xfffd
	s_delay_alu instid0(VALU_DEP_2)
	v_add_co_ci_u32_e32 v15, vcc_lo, s5, v7, vcc_lo
	s_clause 0x2
	global_load_b128 v[6:9], v[14:15], off
	global_load_b128 v[10:13], v[14:15], off offset:16
	global_load_b128 v[20:23], v[14:15], off offset:32
	s_wait_loadcnt 0x2
	v_mul_f64_e32 v[14:15], v[0:1], v[8:9]
	v_mul_f64_e32 v[8:9], v[40:41], v[8:9]
	s_wait_loadcnt 0x1
	v_mul_f64_e32 v[24:25], v[2:3], v[12:13]
	v_mul_f64_e32 v[12:13], v[42:43], v[12:13]
	;; [unrolled: 3-line block ×3, first 2 shown]
	v_fma_f64 v[14:15], v[40:41], v[6:7], v[14:15]
	v_fma_f64 v[0:1], v[0:1], v[6:7], -v[8:9]
	v_fma_f64 v[6:7], v[42:43], v[10:11], v[24:25]
	v_fma_f64 v[2:3], v[2:3], v[10:11], -v[12:13]
	;; [unrolled: 2-line block ×3, first 2 shown]
	s_delay_alu instid0(VALU_DEP_4) | instskip(NEXT) | instid1(VALU_DEP_4)
	v_add_f64_e64 v[12:13], v[62:63], -v[6:7]
	v_add_f64_e64 v[18:19], v[16:17], -v[2:3]
	s_delay_alu instid0(VALU_DEP_4) | instskip(NEXT) | instid1(VALU_DEP_4)
	v_add_f64_e64 v[2:3], v[14:15], -v[8:9]
	v_add_f64_e64 v[6:7], v[0:1], -v[10:11]
	s_delay_alu instid0(VALU_DEP_4) | instskip(NEXT) | instid1(VALU_DEP_4)
	v_fma_f64 v[20:21], v[62:63], 2.0, -v[12:13]
	v_fma_f64 v[16:17], v[16:17], 2.0, -v[18:19]
	s_delay_alu instid0(VALU_DEP_4) | instskip(NEXT) | instid1(VALU_DEP_4)
	v_fma_f64 v[8:9], v[14:15], 2.0, -v[2:3]
	v_fma_f64 v[10:11], v[0:1], 2.0, -v[6:7]
	v_add_f64_e32 v[0:1], v[12:13], v[6:7]
	v_add_f64_e64 v[2:3], v[18:19], -v[2:3]
	s_delay_alu instid0(VALU_DEP_4) | instskip(NEXT) | instid1(VALU_DEP_4)
	v_add_f64_e64 v[6:7], v[20:21], -v[8:9]
	v_add_f64_e64 v[8:9], v[16:17], -v[10:11]
	v_or_b32_e32 v11, 8, v70
	s_delay_alu instid0(VALU_DEP_1) | instskip(NEXT) | instid1(VALU_DEP_1)
	v_mad_co_u64_u32 v[22:23], null, s8, v11, 0
	v_dual_mov_b32 v10, v23 :: v_dual_add_nc_u32 v31, 19, v70
	s_delay_alu instid0(VALU_DEP_1) | instskip(NEXT) | instid1(VALU_DEP_1)
	v_mad_co_u64_u32 v[24:25], null, s8, v31, 0
	v_dual_mov_b32 v23, v25 :: v_dual_add_nc_u32 v32, 30, v70
	s_delay_alu instid0(VALU_DEP_1) | instskip(NEXT) | instid1(VALU_DEP_1)
	v_mad_co_u64_u32 v[26:27], null, s8, v32, 0
	v_mov_b32_e32 v25, v27
	v_mov_b32_e32 v27, v29
	v_mad_co_u64_u32 v[29:30], null, s9, v11, v[10:11]
	v_fma_f64 v[10:11], v[12:13], 2.0, -v[0:1]
	v_fma_f64 v[14:15], v[20:21], 2.0, -v[6:7]
	;; [unrolled: 1-line block ×4, first 2 shown]
	v_mad_co_u64_u32 v[18:19], null, s9, v31, v[23:24]
	v_mad_co_u64_u32 v[19:20], null, s9, v32, v[25:26]
	;; [unrolled: 1-line block ×3, first 2 shown]
	v_mov_b32_e32 v23, v29
	s_delay_alu instid0(VALU_DEP_4) | instskip(NEXT) | instid1(VALU_DEP_4)
	v_mov_b32_e32 v25, v18
	v_mov_b32_e32 v27, v19
	s_delay_alu instid0(VALU_DEP_3) | instskip(SKIP_1) | instid1(VALU_DEP_4)
	v_lshlrev_b64_e32 v[18:19], 4, v[22:23]
	v_mov_b32_e32 v29, v20
	v_lshlrev_b64_e32 v[20:21], 4, v[24:25]
	s_delay_alu instid0(VALU_DEP_4) | instskip(NEXT) | instid1(VALU_DEP_4)
	v_lshlrev_b64_e32 v[22:23], 4, v[26:27]
	v_add_co_u32 v18, vcc_lo, v4, v18
	s_wait_alu 0xfffd
	v_add_co_ci_u32_e32 v19, vcc_lo, v5, v19, vcc_lo
	v_lshlrev_b64_e32 v[24:25], 4, v[28:29]
	v_add_co_u32 v20, vcc_lo, v4, v20
	s_wait_alu 0xfffd
	v_add_co_ci_u32_e32 v21, vcc_lo, v5, v21, vcc_lo
	v_add_co_u32 v22, vcc_lo, v4, v22
	s_wait_alu 0xfffd
	v_add_co_ci_u32_e32 v23, vcc_lo, v5, v23, vcc_lo
	;; [unrolled: 3-line block ×3, first 2 shown]
	s_clause 0x3
	global_store_b128 v[18:19], v[14:17], off
	global_store_b128 v[20:21], v[10:13], off
	;; [unrolled: 1-line block ×4, first 2 shown]
.LBB0_20:
	s_nop 0
	s_sendmsg sendmsg(MSG_DEALLOC_VGPRS)
	s_endpgm
	.section	.rodata,"a",@progbits
	.p2align	6, 0x0
	.amdhsa_kernel fft_rtc_back_len44_factors_11_4_wgs_64_tpt_4_halfLds_dp_ip_CI_sbrr_dirReg
		.amdhsa_group_segment_fixed_size 0
		.amdhsa_private_segment_fixed_size 0
		.amdhsa_kernarg_size 88
		.amdhsa_user_sgpr_count 2
		.amdhsa_user_sgpr_dispatch_ptr 0
		.amdhsa_user_sgpr_queue_ptr 0
		.amdhsa_user_sgpr_kernarg_segment_ptr 1
		.amdhsa_user_sgpr_dispatch_id 0
		.amdhsa_user_sgpr_private_segment_size 0
		.amdhsa_wavefront_size32 1
		.amdhsa_uses_dynamic_stack 0
		.amdhsa_enable_private_segment 0
		.amdhsa_system_sgpr_workgroup_id_x 1
		.amdhsa_system_sgpr_workgroup_id_y 0
		.amdhsa_system_sgpr_workgroup_id_z 0
		.amdhsa_system_sgpr_workgroup_info 0
		.amdhsa_system_vgpr_workitem_id 0
		.amdhsa_next_free_vgpr 128
		.amdhsa_next_free_sgpr 38
		.amdhsa_reserve_vcc 1
		.amdhsa_float_round_mode_32 0
		.amdhsa_float_round_mode_16_64 0
		.amdhsa_float_denorm_mode_32 3
		.amdhsa_float_denorm_mode_16_64 3
		.amdhsa_fp16_overflow 0
		.amdhsa_workgroup_processor_mode 1
		.amdhsa_memory_ordered 1
		.amdhsa_forward_progress 0
		.amdhsa_round_robin_scheduling 0
		.amdhsa_exception_fp_ieee_invalid_op 0
		.amdhsa_exception_fp_denorm_src 0
		.amdhsa_exception_fp_ieee_div_zero 0
		.amdhsa_exception_fp_ieee_overflow 0
		.amdhsa_exception_fp_ieee_underflow 0
		.amdhsa_exception_fp_ieee_inexact 0
		.amdhsa_exception_int_div_zero 0
	.end_amdhsa_kernel
	.text
.Lfunc_end0:
	.size	fft_rtc_back_len44_factors_11_4_wgs_64_tpt_4_halfLds_dp_ip_CI_sbrr_dirReg, .Lfunc_end0-fft_rtc_back_len44_factors_11_4_wgs_64_tpt_4_halfLds_dp_ip_CI_sbrr_dirReg
                                        ; -- End function
	.section	.AMDGPU.csdata,"",@progbits
; Kernel info:
; codeLenInByte = 6028
; NumSgprs: 40
; NumVgprs: 128
; ScratchSize: 0
; MemoryBound: 1
; FloatMode: 240
; IeeeMode: 1
; LDSByteSize: 0 bytes/workgroup (compile time only)
; SGPRBlocks: 4
; VGPRBlocks: 15
; NumSGPRsForWavesPerEU: 40
; NumVGPRsForWavesPerEU: 128
; Occupancy: 10
; WaveLimiterHint : 1
; COMPUTE_PGM_RSRC2:SCRATCH_EN: 0
; COMPUTE_PGM_RSRC2:USER_SGPR: 2
; COMPUTE_PGM_RSRC2:TRAP_HANDLER: 0
; COMPUTE_PGM_RSRC2:TGID_X_EN: 1
; COMPUTE_PGM_RSRC2:TGID_Y_EN: 0
; COMPUTE_PGM_RSRC2:TGID_Z_EN: 0
; COMPUTE_PGM_RSRC2:TIDIG_COMP_CNT: 0
	.text
	.p2alignl 7, 3214868480
	.fill 96, 4, 3214868480
	.type	__hip_cuid_869612bb7921f9cc,@object ; @__hip_cuid_869612bb7921f9cc
	.section	.bss,"aw",@nobits
	.globl	__hip_cuid_869612bb7921f9cc
__hip_cuid_869612bb7921f9cc:
	.byte	0                               ; 0x0
	.size	__hip_cuid_869612bb7921f9cc, 1

	.ident	"AMD clang version 19.0.0git (https://github.com/RadeonOpenCompute/llvm-project roc-6.4.0 25133 c7fe45cf4b819c5991fe208aaa96edf142730f1d)"
	.section	".note.GNU-stack","",@progbits
	.addrsig
	.addrsig_sym __hip_cuid_869612bb7921f9cc
	.amdgpu_metadata
---
amdhsa.kernels:
  - .args:
      - .actual_access:  read_only
        .address_space:  global
        .offset:         0
        .size:           8
        .value_kind:     global_buffer
      - .offset:         8
        .size:           8
        .value_kind:     by_value
      - .actual_access:  read_only
        .address_space:  global
        .offset:         16
        .size:           8
        .value_kind:     global_buffer
      - .actual_access:  read_only
        .address_space:  global
        .offset:         24
        .size:           8
        .value_kind:     global_buffer
      - .offset:         32
        .size:           8
        .value_kind:     by_value
      - .actual_access:  read_only
        .address_space:  global
        .offset:         40
        .size:           8
        .value_kind:     global_buffer
      - .actual_access:  read_only
        .address_space:  global
        .offset:         48
        .size:           8
        .value_kind:     global_buffer
      - .offset:         56
        .size:           4
        .value_kind:     by_value
      - .actual_access:  read_only
        .address_space:  global
        .offset:         64
        .size:           8
        .value_kind:     global_buffer
      - .actual_access:  read_only
        .address_space:  global
        .offset:         72
        .size:           8
        .value_kind:     global_buffer
      - .address_space:  global
        .offset:         80
        .size:           8
        .value_kind:     global_buffer
    .group_segment_fixed_size: 0
    .kernarg_segment_align: 8
    .kernarg_segment_size: 88
    .language:       OpenCL C
    .language_version:
      - 2
      - 0
    .max_flat_workgroup_size: 64
    .name:           fft_rtc_back_len44_factors_11_4_wgs_64_tpt_4_halfLds_dp_ip_CI_sbrr_dirReg
    .private_segment_fixed_size: 0
    .sgpr_count:     40
    .sgpr_spill_count: 0
    .symbol:         fft_rtc_back_len44_factors_11_4_wgs_64_tpt_4_halfLds_dp_ip_CI_sbrr_dirReg.kd
    .uniform_work_group_size: 1
    .uses_dynamic_stack: false
    .vgpr_count:     128
    .vgpr_spill_count: 0
    .wavefront_size: 32
    .workgroup_processor_mode: 1
amdhsa.target:   amdgcn-amd-amdhsa--gfx1201
amdhsa.version:
  - 1
  - 2
...

	.end_amdgpu_metadata
